;; amdgpu-corpus repo=ROCm/rocFFT kind=compiled arch=gfx950 opt=O3
	.text
	.amdgcn_target "amdgcn-amd-amdhsa--gfx950"
	.amdhsa_code_object_version 6
	.protected	fft_rtc_back_len100_factors_10_2_5_wgs_120_tpt_10_halfLds_dim2_dp_ip_CI_sbcc_twdbase6_3step_dirReg ; -- Begin function fft_rtc_back_len100_factors_10_2_5_wgs_120_tpt_10_halfLds_dim2_dp_ip_CI_sbcc_twdbase6_3step_dirReg
	.globl	fft_rtc_back_len100_factors_10_2_5_wgs_120_tpt_10_halfLds_dim2_dp_ip_CI_sbcc_twdbase6_3step_dirReg
	.p2align	8
	.type	fft_rtc_back_len100_factors_10_2_5_wgs_120_tpt_10_halfLds_dim2_dp_ip_CI_sbcc_twdbase6_3step_dirReg,@function
fft_rtc_back_len100_factors_10_2_5_wgs_120_tpt_10_halfLds_dim2_dp_ip_CI_sbcc_twdbase6_3step_dirReg: ; @fft_rtc_back_len100_factors_10_2_5_wgs_120_tpt_10_halfLds_dim2_dp_ip_CI_sbcc_twdbase6_3step_dirReg
; %bb.0:
	s_load_dwordx2 s[10:11], s[0:1], 0x50
	s_load_dwordx2 s[12:13], s[0:1], 0x0
	s_load_dwordx4 s[4:7], s[0:1], 0x10
	s_movk_i32 s3, 0xc0
	v_cmp_gt_u32_e32 vcc, s3, v0
	s_and_saveexec_b64 s[8:9], vcc
	s_cbranch_execz .LBB0_3
; %bb.1:
	s_load_dwordx2 s[0:1], s[0:1], 0x8
	s_movk_i32 s14, 0xff88
	v_mov_b32_e32 v1, 0
	s_mov_b32 s15, -1
	v_lshlrev_b32_e32 v6, 4, v0
	v_lshl_add_u64 v[2:3], v[0:1], 0, s[14:15]
	v_mov_b32_e32 v7, v1
	v_add_u32_e32 v1, 0, v6
	s_waitcnt lgkmcnt(0)
	v_lshl_add_u64 v[4:5], s[0:1], 0, v[6:7]
	v_add_u32_e32 v1, 0x2580, v1
	s_mov_b64 s[0:1], 0
	s_mov_b64 s[14:15], 0x78
	;; [unrolled: 1-line block ×4, first 2 shown]
.LBB0_2:                                ; =>This Inner Loop Header: Depth=1
	global_load_dwordx4 v[6:9], v[4:5], off
	v_lshl_add_u64 v[2:3], v[2:3], 0, s[14:15]
	v_cmp_lt_u64_e32 vcc, s[18:19], v[2:3]
	v_lshl_add_u64 v[4:5], v[4:5], 0, s[16:17]
	s_or_b64 s[0:1], vcc, s[0:1]
	s_waitcnt vmcnt(0)
	ds_write2_b64 v1, v[6:7], v[8:9] offset1:1
	v_add_u32_e32 v1, 0x780, v1
	s_andn2_b64 exec, exec, s[0:1]
	s_cbranch_execnz .LBB0_2
.LBB0_3:
	s_or_b64 exec, exec, s[8:9]
	s_waitcnt lgkmcnt(0)
	s_load_dwordx2 s[14:15], s[4:5], 0x8
	s_load_dwordx2 s[8:9], s[6:7], 0x0
	s_mov_b32 s3, 0
	s_mov_b64 s[16:17], -1
	s_waitcnt lgkmcnt(0)
	s_add_u32 s0, s14, -1
	s_addc_u32 s1, s15, -1
	s_add_u32 s4, 0, 0x55540000
	s_addc_u32 s5, 0, 0x55
	s_add_i32 s5, s5, 0x15555500
	s_mul_hi_u32 s21, s4, -12
	s_sub_i32 s21, s21, s4
	s_mul_i32 s22, s5, -12
	s_mul_i32 s18, s4, -12
	s_add_i32 s21, s21, s22
	s_mul_hi_u32 s19, s5, s18
	s_mul_i32 s20, s5, s18
	s_mul_i32 s23, s4, s21
	s_mul_hi_u32 s18, s4, s18
	s_mul_hi_u32 s22, s4, s21
	s_add_u32 s18, s18, s23
	s_addc_u32 s22, 0, s22
	s_add_u32 s18, s18, s20
	s_mul_hi_u32 s23, s5, s21
	s_addc_u32 s18, s22, s19
	s_addc_u32 s19, s23, 0
	s_mul_i32 s20, s5, s21
	s_add_u32 s18, s18, s20
	v_mov_b32_e32 v1, s18
	s_addc_u32 s19, 0, s19
	v_add_co_u32_e32 v1, vcc, s4, v1
	s_cmp_lg_u64 vcc, 0
	s_addc_u32 s4, s5, s19
	v_readfirstlane_b32 s19, v1
	s_mul_i32 s18, s0, s4
	s_mul_hi_u32 s20, s0, s19
	s_mul_hi_u32 s5, s0, s4
	s_add_u32 s18, s20, s18
	s_addc_u32 s5, 0, s5
	s_mul_hi_u32 s21, s1, s19
	s_mul_i32 s19, s1, s19
	s_add_u32 s18, s18, s19
	s_mul_hi_u32 s20, s1, s4
	s_addc_u32 s5, s5, s21
	s_addc_u32 s18, s20, 0
	s_mul_i32 s4, s1, s4
	s_add_u32 s4, s5, s4
	s_addc_u32 s5, 0, s18
	s_add_u32 s18, s4, 1
	s_addc_u32 s19, s5, 0
	s_add_u32 s20, s4, 2
	s_mul_i32 s22, s5, 12
	s_mul_hi_u32 s23, s4, 12
	s_addc_u32 s21, s5, 0
	s_add_i32 s23, s23, s22
	s_mul_i32 s22, s4, 12
	v_mov_b32_e32 v1, s22
	v_sub_co_u32_e32 v1, vcc, s0, v1
	s_cmp_lg_u64 vcc, 0
	s_subb_u32 s0, s1, s23
	v_subrev_co_u32_e32 v2, vcc, 12, v1
	s_cmp_lg_u64 vcc, 0
	s_subb_u32 s1, s0, 0
	v_readfirstlane_b32 s22, v2
	s_cmp_gt_u32 s22, 11
	s_cselect_b32 s22, -1, 0
	s_cmp_eq_u32 s1, 0
	s_cselect_b32 s1, s22, -1
	s_cmp_lg_u32 s1, 0
	s_cselect_b32 s1, s20, s18
	s_cselect_b32 s18, s21, s19
	v_readfirstlane_b32 s19, v1
	s_cmp_gt_u32 s19, 11
	s_cselect_b32 s19, -1, 0
	s_cmp_eq_u32 s0, 0
	s_cselect_b32 s0, s19, -1
	s_cmp_lg_u32 s0, 0
	s_cselect_b32 s0, s1, s4
	s_cselect_b32 s5, s18, s5
	s_add_u32 s0, s0, 1
	s_addc_u32 s1, s5, 0
	v_mov_b64_e32 v[2:3], s[0:1]
	v_cmp_lt_u64_e32 vcc, s[2:3], v[2:3]
	s_mov_b64 s[18:19], 0
	s_cbranch_vccnz .LBB0_5
; %bb.4:
	v_cvt_f32_u32_e32 v1, s0
	s_sub_i32 s3, 0, s0
	v_rcp_iflag_f32_e32 v1, v1
	s_nop 0
	v_mul_f32_e32 v1, 0x4f7ffffe, v1
	v_cvt_u32_f32_e32 v1, v1
	s_nop 0
	v_readfirstlane_b32 s4, v1
	s_mul_i32 s3, s3, s4
	s_mul_hi_u32 s3, s4, s3
	s_add_i32 s4, s4, s3
	s_mul_hi_u32 s3, s2, s4
	s_mul_i32 s5, s3, s0
	s_sub_i32 s5, s2, s5
	s_add_i32 s4, s3, 1
	s_sub_i32 s18, s5, s0
	s_cmp_ge_u32 s5, s0
	s_cselect_b32 s3, s4, s3
	s_cselect_b32 s5, s18, s5
	s_add_i32 s4, s3, 1
	s_cmp_ge_u32 s5, s0
	s_cselect_b32 s18, s4, s3
.LBB0_5:
	s_mul_i32 s1, s18, s1
	s_mul_hi_u32 s3, s18, s0
	s_load_dwordx4 s[4:7], s[6:7], 0x8
	s_add_i32 s3, s3, s1
	s_mul_i32 s0, s18, s0
	s_sub_u32 s0, s2, s0
	s_subb_u32 s1, 0, s3
	s_mul_i32 s19, s1, 12
	s_mul_hi_u32 s1, s0, 12
	s_mul_i32 s21, s0, 12
	s_add_i32 s20, s1, s19
	s_waitcnt lgkmcnt(0)
	s_mul_i32 s2, s21, s5
	s_mul_hi_u32 s3, s21, s4
	s_mul_i32 s1, s20, s4
	s_add_i32 s2, s3, s2
	s_mul_i32 s3, s7, s18
	s_mul_hi_u32 s7, s6, s18
	s_add_i32 s1, s2, s1
	s_mul_i32 s2, s21, s4
	s_add_i32 s7, s7, s3
	s_mul_i32 s3, s6, s18
	s_add_u32 s2, s3, s2
	s_addc_u32 s3, s7, s1
	s_mov_b32 s1, 0x15555556
	v_mul_hi_u32 v45, v0, s1
	v_mul_u32_u24_e32 v1, 12, v45
	s_add_u32 s6, s21, 12
	v_sub_u32_e32 v42, v0, v1
	v_mov_b32_e32 v43, 0
	s_addc_u32 s7, s20, 0
	v_mov_b64_e32 v[2:3], s[14:15]
	v_mad_u64_u32 v[46:47], s[0:1], s0, 12, v[42:43]
	v_cmp_gt_u64_e32 vcc, s[6:7], v[2:3]
	v_add_u32_e32 v47, s19, v47
	v_cmp_le_u64_e64 s[0:1], s[6:7], v[2:3]
	s_cbranch_vccz .LBB0_11
; %bb.6:
	v_cmp_le_u64_e32 vcc, s[14:15], v[46:47]
                                        ; implicit-def: $vgpr44
                                        ; implicit-def: $vgpr53
                                        ; implicit-def: $vgpr1
                                        ; implicit-def: $vgpr52
	s_and_saveexec_b64 s[6:7], vcc
	s_xor_b64 s[6:7], exec, s[6:7]
; %bb.7:
	v_add_u32_e32 v44, 10, v45
	v_add_u32_e32 v53, 20, v45
	;; [unrolled: 1-line block ×4, first 2 shown]
; %bb.8:
	s_or_saveexec_b64 s[6:7], s[6:7]
                                        ; implicit-def: $vgpr2_vgpr3
                                        ; implicit-def: $vgpr6_vgpr7
                                        ; implicit-def: $vgpr18_vgpr19
                                        ; implicit-def: $vgpr10_vgpr11
                                        ; implicit-def: $vgpr26_vgpr27
                                        ; implicit-def: $vgpr14_vgpr15
                                        ; implicit-def: $vgpr34_vgpr35
                                        ; implicit-def: $vgpr22_vgpr23
                                        ; implicit-def: $vgpr38_vgpr39
                                        ; implicit-def: $vgpr30_vgpr31
	s_xor_b64 exec, exec, s[6:7]
	s_cbranch_execz .LBB0_10
; %bb.9:
	v_mad_u64_u32 v[2:3], s[16:17], s4, v42, 0
	v_mov_b32_e32 v4, v3
	v_mad_u64_u32 v[4:5], s[16:17], s5, v42, v[4:5]
	v_mov_b32_e32 v3, v4
	;; [unrolled: 2-line block ×3, first 2 shown]
	v_mad_u64_u32 v[6:7], s[16:17], s9, v45, v[6:7]
	s_lshl_b64 s[16:17], s[2:3], 4
	s_add_u32 s16, s10, s16
	s_addc_u32 s17, s11, s17
	v_add_u32_e32 v44, 10, v45
	v_mov_b32_e32 v5, v6
	v_lshl_add_u64 v[30:31], v[2:3], 4, s[16:17]
	v_mad_u64_u32 v[2:3], s[16:17], s8, v44, 0
	v_lshl_add_u64 v[10:11], v[4:5], 4, v[30:31]
	v_mov_b32_e32 v4, v3
	v_mad_u64_u32 v[4:5], s[16:17], s9, v44, v[4:5]
	v_mov_b32_e32 v3, v4
	v_add_u32_e32 v53, 20, v45
	v_lshl_add_u64 v[12:13], v[2:3], 4, v[30:31]
	global_load_dwordx4 v[2:5], v[10:11], off
	global_load_dwordx4 v[6:9], v[12:13], off
	v_mad_u64_u32 v[10:11], s[16:17], s8, v53, 0
	v_mov_b32_e32 v12, v11
	v_mad_u64_u32 v[12:13], s[16:17], s9, v53, v[12:13]
	v_mov_b32_e32 v11, v12
	v_add_u32_e32 v1, 30, v45
	v_lshl_add_u64 v[14:15], v[10:11], 4, v[30:31]
	v_mad_u64_u32 v[10:11], s[16:17], s8, v1, 0
	v_mov_b32_e32 v12, v11
	v_mad_u64_u32 v[12:13], s[16:17], s9, v1, v[12:13]
	v_mov_b32_e32 v11, v12
	v_add_u32_e32 v52, 40, v45
	v_lshl_add_u64 v[16:17], v[10:11], 4, v[30:31]
	global_load_dwordx4 v[18:21], v[14:15], off
	global_load_dwordx4 v[10:13], v[16:17], off
	v_mad_u64_u32 v[14:15], s[16:17], s8, v52, 0
	v_mov_b32_e32 v16, v15
	v_mad_u64_u32 v[16:17], s[16:17], s9, v52, v[16:17]
	v_mov_b32_e32 v15, v16
	v_add_u32_e32 v17, 50, v45
	v_lshl_add_u64 v[22:23], v[14:15], 4, v[30:31]
	v_mad_u64_u32 v[14:15], s[16:17], s8, v17, 0
	v_mov_b32_e32 v16, v15
	v_mad_u64_u32 v[16:17], s[16:17], s9, v17, v[16:17]
	v_mov_b32_e32 v15, v16
	v_lshl_add_u64 v[24:25], v[14:15], 4, v[30:31]
	global_load_dwordx4 v[26:29], v[22:23], off
	global_load_dwordx4 v[14:17], v[24:25], off
	v_add_u32_e32 v25, 60, v45
	v_mad_u64_u32 v[22:23], s[16:17], s8, v25, 0
	v_mov_b32_e32 v24, v23
	v_mad_u64_u32 v[24:25], s[16:17], s9, v25, v[24:25]
	v_mov_b32_e32 v23, v24
	v_add_u32_e32 v25, 0x46, v45
	v_lshl_add_u64 v[32:33], v[22:23], 4, v[30:31]
	v_mad_u64_u32 v[22:23], s[16:17], s8, v25, 0
	v_mov_b32_e32 v24, v23
	v_mad_u64_u32 v[24:25], s[16:17], s9, v25, v[24:25]
	v_mov_b32_e32 v23, v24
	v_lshl_add_u64 v[38:39], v[22:23], 4, v[30:31]
	global_load_dwordx4 v[34:37], v[32:33], off
	global_load_dwordx4 v[22:25], v[38:39], off
	v_or_b32_e32 v39, 0x50, v45
	v_mad_u64_u32 v[32:33], s[16:17], s8, v39, 0
	v_mov_b32_e32 v38, v33
	v_mad_u64_u32 v[38:39], s[16:17], s9, v39, v[38:39]
	v_mov_b32_e32 v33, v38
	v_add_u32_e32 v39, 0x5a, v45
	v_lshl_add_u64 v[48:49], v[32:33], 4, v[30:31]
	v_mad_u64_u32 v[32:33], s[16:17], s8, v39, 0
	v_mov_b32_e32 v38, v33
	v_mad_u64_u32 v[38:39], s[16:17], s9, v39, v[38:39]
	v_mov_b32_e32 v33, v38
	v_lshl_add_u64 v[50:51], v[32:33], 4, v[30:31]
	global_load_dwordx4 v[38:41], v[48:49], off
	global_load_dwordx4 v[30:33], v[50:51], off
.LBB0_10:
	s_or_b64 exec, exec, s[6:7]
	s_mov_b64 s[16:17], 0
	s_branch .LBB0_12
.LBB0_11:
                                        ; implicit-def: $vgpr2_vgpr3
                                        ; implicit-def: $vgpr6_vgpr7
                                        ; implicit-def: $vgpr18_vgpr19
                                        ; implicit-def: $vgpr10_vgpr11
                                        ; implicit-def: $vgpr26_vgpr27
                                        ; implicit-def: $vgpr14_vgpr15
                                        ; implicit-def: $vgpr34_vgpr35
                                        ; implicit-def: $vgpr22_vgpr23
                                        ; implicit-def: $vgpr38_vgpr39
                                        ; implicit-def: $vgpr30_vgpr31
                                        ; implicit-def: $vgpr44
                                        ; implicit-def: $vgpr53
                                        ; implicit-def: $vgpr1
                                        ; implicit-def: $vgpr52
.LBB0_12:
	s_andn2_b64 vcc, exec, s[16:17]
	v_add_u32_e32 v63, 20, v45
	v_add_u32_e32 v62, 40, v45
	;; [unrolled: 1-line block ×3, first 2 shown]
	s_cbranch_vccnz .LBB0_14
; %bb.13:
	s_waitcnt vmcnt(9)
	v_mad_u64_u32 v[2:3], s[6:7], s4, v42, 0
	v_mov_b32_e32 v4, v3
	v_mad_u64_u32 v[4:5], s[6:7], s5, v42, v[4:5]
	v_mov_b32_e32 v3, v4
	v_mad_u64_u32 v[4:5], s[6:7], s8, v45, 0
	s_waitcnt vmcnt(8)
	v_mov_b32_e32 v6, v5
	v_mad_u64_u32 v[6:7], s[6:7], s9, v45, v[6:7]
	s_lshl_b64 s[6:7], s[2:3], 4
	s_add_u32 s6, s10, s6
	s_addc_u32 s7, s11, s7
	v_add_u32_e32 v44, 10, v45
	v_mov_b32_e32 v5, v6
	s_waitcnt vmcnt(0)
	v_lshl_add_u64 v[30:31], v[2:3], 4, s[6:7]
	v_mad_u64_u32 v[2:3], s[6:7], s8, v44, 0
	v_lshl_add_u64 v[10:11], v[4:5], 4, v[30:31]
	v_mov_b32_e32 v4, v3
	v_mad_u64_u32 v[4:5], s[6:7], s9, v44, v[4:5]
	v_mov_b32_e32 v3, v4
	v_lshl_add_u64 v[12:13], v[2:3], 4, v[30:31]
	global_load_dwordx4 v[2:5], v[10:11], off
	global_load_dwordx4 v[6:9], v[12:13], off
	v_mad_u64_u32 v[10:11], s[6:7], s8, v63, 0
	v_mov_b32_e32 v12, v11
	v_mad_u64_u32 v[12:13], s[6:7], s9, v63, v[12:13]
	v_mov_b32_e32 v11, v12
	v_add_u32_e32 v1, 30, v45
	v_lshl_add_u64 v[14:15], v[10:11], 4, v[30:31]
	v_mad_u64_u32 v[10:11], s[6:7], s8, v1, 0
	v_mov_b32_e32 v12, v11
	v_mad_u64_u32 v[12:13], s[6:7], s9, v1, v[12:13]
	v_mov_b32_e32 v11, v12
	v_lshl_add_u64 v[16:17], v[10:11], 4, v[30:31]
	global_load_dwordx4 v[18:21], v[14:15], off
	global_load_dwordx4 v[10:13], v[16:17], off
	v_mad_u64_u32 v[14:15], s[6:7], s8, v62, 0
	v_mov_b32_e32 v16, v15
	v_mad_u64_u32 v[16:17], s[6:7], s9, v62, v[16:17]
	v_mov_b32_e32 v15, v16
	v_add_u32_e32 v17, 50, v45
	v_lshl_add_u64 v[22:23], v[14:15], 4, v[30:31]
	v_mad_u64_u32 v[14:15], s[6:7], s8, v17, 0
	;; [unrolled: 13-line block ×3, first 2 shown]
	v_mov_b32_e32 v24, v23
	v_mad_u64_u32 v[24:25], s[6:7], s9, v25, v[24:25]
	v_mov_b32_e32 v23, v24
	v_lshl_add_u64 v[38:39], v[22:23], 4, v[30:31]
	global_load_dwordx4 v[34:37], v[32:33], off
	global_load_dwordx4 v[22:25], v[38:39], off
	v_or_b32_e32 v39, 0x50, v45
	v_mad_u64_u32 v[32:33], s[6:7], s8, v39, 0
	v_mov_b32_e32 v38, v33
	v_mad_u64_u32 v[38:39], s[6:7], s9, v39, v[38:39]
	v_mov_b32_e32 v33, v38
	v_add_u32_e32 v39, 0x5a, v45
	v_lshl_add_u64 v[48:49], v[32:33], 4, v[30:31]
	v_mad_u64_u32 v[32:33], s[6:7], s8, v39, 0
	v_mov_b32_e32 v38, v33
	v_mad_u64_u32 v[38:39], s[6:7], s9, v39, v[38:39]
	v_mov_b32_e32 v33, v38
	v_lshl_add_u64 v[50:51], v[32:33], 4, v[30:31]
	global_load_dwordx4 v[38:41], v[48:49], off
	global_load_dwordx4 v[30:33], v[50:51], off
	v_mov_b32_e32 v52, v62
	v_mov_b32_e32 v53, v63
.LBB0_14:
	s_waitcnt vmcnt(7)
	v_add_f64 v[48:49], v[18:19], v[2:3]
	v_add_f64 v[56:57], v[20:21], v[4:5]
	s_waitcnt vmcnt(5)
	v_add_f64 v[54:55], v[26:27], v[48:49]
	v_add_f64 v[56:57], v[28:29], v[56:57]
	s_waitcnt vmcnt(3)
	v_add_f64 v[48:49], v[28:29], -v[36:37]
	v_add_f64 v[64:65], v[36:37], v[28:29]
	v_add_f64 v[66:67], v[20:21], -v[28:29]
	v_add_f64 v[28:29], v[28:29], -v[20:21]
	s_waitcnt vmcnt(1)
	v_add_f64 v[68:69], v[20:21], -v[40:41]
	v_add_f64 v[72:73], v[40:41], v[20:21]
	v_add_f64 v[20:21], v[34:35], v[54:55]
	;; [unrolled: 1-line block ×4, first 2 shown]
	v_add_f64 v[58:59], v[18:19], -v[26:27]
	v_add_f64 v[60:61], v[26:27], -v[18:19]
	;; [unrolled: 1-line block ×3, first 2 shown]
	v_add_f64 v[70:71], v[38:39], v[18:19]
	v_add_f64 v[18:19], v[18:19], -v[38:39]
	v_add_f64 v[56:57], v[38:39], -v[34:35]
	;; [unrolled: 1-line block ×3, first 2 shown]
	v_add_f64 v[38:39], v[38:39], v[20:21]
	v_add_f64 v[20:21], v[40:41], v[54:55]
	v_add_f64 v[54:55], v[12:13], v[8:9]
	v_add_f64 v[74:75], v[40:41], -v[36:37]
	v_add_f64 v[36:37], v[36:37], -v[40:41]
	v_add_f64 v[40:41], v[10:11], v[6:7]
	v_add_f64 v[54:55], v[16:17], v[54:55]
	;; [unrolled: 1-line block ×3, first 2 shown]
	v_add_f64 v[78:79], v[16:17], -v[24:25]
	v_add_f64 v[84:85], v[24:25], v[16:17]
	v_add_f64 v[86:87], v[12:13], -v[16:17]
	v_add_f64 v[16:17], v[16:17], -v[12:13]
	s_waitcnt vmcnt(0)
	v_add_f64 v[88:89], v[12:13], -v[32:33]
	v_add_f64 v[12:13], v[32:33], v[12:13]
	v_add_f64 v[54:55], v[24:25], v[54:55]
	s_mov_b32 s18, 0x134454ff
	v_add_f64 v[76:77], v[22:23], v[14:15]
	v_add_f64 v[80:81], v[10:11], -v[14:15]
	v_add_f64 v[82:83], v[14:15], -v[10:11]
	;; [unrolled: 1-line block ×3, first 2 shown]
	v_add_f64 v[90:91], v[30:31], v[10:11]
	v_add_f64 v[40:41], v[22:23], v[40:41]
	v_add_f64 v[94:95], v[32:33], -v[24:25]
	v_add_f64 v[24:25], v[24:25], -v[32:33]
	v_add_f64 v[32:33], v[32:33], v[54:55]
	v_fma_f64 v[54:55], -0.5, v[84:85], v[8:9]
	v_fmac_f64_e32 v[8:9], -0.5, v[12:13]
	s_mov_b32 s19, 0xbfee6f0e
	s_mov_b32 s16, 0x4755a5e
	;; [unrolled: 1-line block ×4, first 2 shown]
	v_add_f64 v[10:11], v[10:11], -v[30:31]
	v_add_f64 v[92:93], v[30:31], -v[22:23]
	;; [unrolled: 1-line block ×3, first 2 shown]
	v_add_f64 v[30:31], v[30:31], v[40:41]
	v_fma_f64 v[40:41], -0.5, v[76:77], v[6:7]
	v_fmac_f64_e32 v[6:7], -0.5, v[90:91]
	v_add_f64 v[12:13], v[24:25], v[16:17]
	s_mov_b32 s17, 0xbfe2cf23
	s_mov_b32 s6, 0x372fe950
	v_fma_f64 v[24:25], s[18:19], v[14:15], v[8:9]
	v_fmac_f64_e32 v[8:9], s[20:21], v[14:15]
	s_mov_b32 s7, 0x3fd3c6ef
	s_mov_b32 s23, 0x3fe2cf23
	;; [unrolled: 1-line block ×3, first 2 shown]
	v_fma_f64 v[16:17], s[20:21], v[78:79], v[6:7]
	v_fmac_f64_e32 v[6:7], s[18:19], v[78:79]
	v_fmac_f64_e32 v[8:9], s[16:17], v[10:11]
	v_add_f64 v[22:23], v[22:23], v[82:83]
	v_fmac_f64_e32 v[6:7], s[22:23], v[88:89]
	v_fmac_f64_e32 v[8:9], s[6:7], v[12:13]
	s_mov_b32 s25, 0xbfd3c6ef
	s_mov_b32 s24, s6
	v_fmac_f64_e32 v[6:7], s[6:7], v[22:23]
	v_mul_f64 v[76:77], v[8:9], s[18:19]
	v_mul_f64 v[8:9], v[8:9], s[24:25]
	v_fmac_f64_e32 v[76:77], s[24:25], v[6:7]
	v_fmac_f64_e32 v[8:9], s[20:21], v[6:7]
	v_fma_f64 v[6:7], -0.5, v[50:51], v[2:3]
	v_fmac_f64_e32 v[2:3], -0.5, v[70:71]
	v_fma_f64 v[50:51], -0.5, v[64:65], v[4:5]
	v_fmac_f64_e32 v[4:5], -0.5, v[72:73]
	v_add_f64 v[34:35], v[34:35], v[60:61]
	v_add_f64 v[28:29], v[36:37], v[28:29]
	v_fma_f64 v[36:37], s[20:21], v[48:49], v[2:3]
	v_fmac_f64_e32 v[2:3], s[18:19], v[48:49]
	v_fma_f64 v[60:61], s[18:19], v[26:27], v[4:5]
	v_fmac_f64_e32 v[4:5], s[20:21], v[26:27]
	v_fmac_f64_e32 v[2:3], s[22:23], v[68:69]
	;; [unrolled: 1-line block ×5, first 2 shown]
	v_add_f64 v[64:65], v[2:3], v[76:77]
	v_add_f64 v[2:3], v[2:3], -v[76:77]
	v_add_f64 v[70:71], v[4:5], v[8:9]
	v_add_f64 v[8:9], v[4:5], -v[8:9]
	v_add_f64 v[4:5], v[56:57], v[58:59]
	v_add_f64 v[56:57], v[92:93], v[80:81]
	v_fma_f64 v[76:77], s[18:19], v[88:89], v[40:41]
	v_fma_f64 v[80:81], s[20:21], v[10:11], v[54:55]
	v_add_f64 v[58:59], v[94:95], v[86:87]
	v_fmac_f64_e32 v[76:77], s[16:17], v[78:79]
	v_fmac_f64_e32 v[80:81], s[22:23], v[14:15]
	;; [unrolled: 1-line block ×5, first 2 shown]
	s_mov_b32 s24, 0x9b97f4a8
	v_fmac_f64_e32 v[24:25], s[22:23], v[10:11]
	v_fmac_f64_e32 v[40:41], s[20:21], v[88:89]
	;; [unrolled: 1-line block ×3, first 2 shown]
	v_fma_f64 v[72:73], s[18:19], v[68:69], v[6:7]
	s_mov_b32 s25, 0x3fe9e377
	v_mul_f64 v[82:83], v[80:81], s[16:17]
	v_fmac_f64_e32 v[36:37], s[16:17], v[68:69]
	v_fmac_f64_e32 v[16:17], s[16:17], v[88:89]
	;; [unrolled: 1-line block ×6, first 2 shown]
	v_mul_f64 v[10:11], v[76:77], s[22:23]
	v_fmac_f64_e32 v[72:73], s[16:17], v[48:49]
	v_fmac_f64_e32 v[82:83], s[24:25], v[76:77]
	;; [unrolled: 1-line block ×4, first 2 shown]
	v_mul_f64 v[12:13], v[24:25], s[18:19]
	v_fmac_f64_e32 v[6:7], s[22:23], v[48:49]
	v_fmac_f64_e32 v[40:41], s[6:7], v[56:57]
	;; [unrolled: 1-line block ×3, first 2 shown]
	v_mul_f64 v[34:35], v[54:55], s[16:17]
	s_mov_b32 s25, 0xbfe9e377
	v_fmac_f64_e32 v[72:73], s[6:7], v[4:5]
	v_mul_u32_u24_e32 v84, 0x3c0, v45
	v_lshlrev_b32_e32 v90, 3, v42
	v_fmac_f64_e32 v[12:13], s[6:7], v[16:17]
	v_fmac_f64_e32 v[6:7], s[6:7], v[4:5]
	;; [unrolled: 1-line block ×3, first 2 shown]
	v_add3_u32 v91, 0, v84, v90
	v_add_f64 v[84:85], v[30:31], v[38:39]
	v_add_f64 v[86:87], v[72:73], v[82:83]
	;; [unrolled: 1-line block ×3, first 2 shown]
	v_add_f64 v[4:5], v[38:39], -v[30:31]
	v_add_f64 v[12:13], v[36:37], -v[12:13]
	v_add_f64 v[36:37], v[6:7], v[34:35]
	ds_write2_b64 v91, v[84:85], v[86:87] offset1:12
	ds_write2_b64 v91, v[22:23], v[64:65] offset0:24 offset1:36
	v_fma_f64 v[30:31], s[20:21], v[18:19], v[50:51]
	v_add_f64 v[14:15], v[72:73], -v[82:83]
	v_add_f64 v[6:7], v[6:7], -v[34:35]
	ds_write2_b64 v91, v[36:37], v[4:5] offset0:48 offset1:60
	ds_write2_b64 v91, v[14:15], v[12:13] offset0:72 offset1:84
	;; [unrolled: 1-line block ×3, first 2 shown]
	v_mul_i32_i24_e32 v2, 0x60, v44
	v_add_f64 v[22:23], v[74:75], v[66:67]
	v_fmac_f64_e32 v[30:31], s[22:23], v[26:27]
	v_add3_u32 v57, 0, v2, v90
	v_mul_i32_i24_e32 v2, 0x60, v53
	v_fmac_f64_e32 v[50:51], s[18:19], v[18:19]
	v_fmac_f64_e32 v[60:61], s[22:23], v[18:19]
	v_mul_f64 v[16:17], v[16:17], s[20:21]
	v_fmac_f64_e32 v[30:31], s[6:7], v[22:23]
	s_movk_i32 s26, 0xfca0
	v_add3_u32 v58, 0, v2, v90
	v_mul_i32_i24_e32 v2, 0x60, v1
	v_fmac_f64_e32 v[50:51], s[16:17], v[26:27]
	v_fmac_f64_e32 v[60:61], s[6:7], v[28:29]
	;; [unrolled: 1-line block ×3, first 2 shown]
	v_mul_f64 v[18:19], v[54:55], s[24:25]
	v_mad_i32_i24 v56, v45, s26, v91
	v_add3_u32 v75, 0, v2, v90
	v_mul_i32_i24_e32 v2, 0x60, v52
	v_add_f64 v[34:35], v[32:33], v[20:21]
	v_add_f64 v[36:37], v[30:31], v[10:11]
	v_fmac_f64_e32 v[50:51], s[6:7], v[22:23]
	v_fmac_f64_e32 v[18:19], s[22:23], v[40:41]
	v_add_f64 v[22:23], v[60:61], v[16:17]
	s_mov_b32 s24, 0x1999999a
	s_waitcnt lgkmcnt(0)
	s_barrier
	ds_read_b64 v[6:7], v56
	v_add_u32_e32 v38, 0x1000, v56
	v_add_u32_e32 v74, 0x1800, v56
	v_add3_u32 v59, 0, v2, v90
	ds_read_b64 v[48:49], v75
	ds_read_b64 v[64:65], v59
	;; [unrolled: 1-line block ×4, first 2 shown]
	ds_read_b64 v[72:73], v56 offset:8640
	ds_read2_b64 v[2:5], v38 offset0:88 offset1:208
	ds_read2_b64 v[12:15], v74 offset0:72 offset1:192
	s_waitcnt lgkmcnt(0)
	s_barrier
	ds_write2_b64 v91, v[34:35], v[36:37] offset1:12
	v_add_f64 v[20:21], v[20:21], -v[32:33]
	v_add_f64 v[10:11], v[30:31], -v[10:11]
	;; [unrolled: 1-line block ×3, first 2 shown]
	v_add_f64 v[24:25], v[50:51], v[18:19]
	v_add_f64 v[18:19], v[50:51], -v[18:19]
	ds_write2_b64 v91, v[22:23], v[70:71] offset0:24 offset1:36
	ds_write2_b64 v91, v[24:25], v[20:21] offset0:48 offset1:60
	;; [unrolled: 1-line block ×4, first 2 shown]
	v_mul_hi_u32 v8, v45, s24
	s_mov_b32 s24, 0xcccccccd
	v_mul_hi_u32 v10, v44, s24
	v_mul_u32_u24_e32 v8, 10, v8
	v_lshrrev_b32_e32 v60, 3, v10
	v_sub_u32_e32 v11, v45, v8
	v_mul_lo_u32 v8, v60, 10
	v_sub_u32_e32 v8, v44, v8
	v_mov_b32_e32 v9, 0
	v_lshlrev_b32_e32 v26, 4, v11
	v_lshl_add_u64 v[24:25], v[8:9], 4, s[12:13]
	s_waitcnt lgkmcnt(0)
	s_barrier
	global_load_dwordx4 v[16:19], v26, s[12:13]
	global_load_dwordx4 v[20:23], v[24:25], off
	v_mul_hi_u32 v24, v53, s24
	v_lshrrev_b32_e32 v61, 3, v24
	v_mul_lo_u32 v24, v61, 10
	v_sub_u32_e32 v40, v53, v24
	v_mov_b32_e32 v41, v9
	v_mul_hi_u32 v26, v1, s24
	v_lshl_add_u64 v[24:25], v[40:41], 4, s[12:13]
	v_lshrrev_b32_e32 v41, 3, v26
	v_mul_lo_u32 v28, v41, 10
	v_sub_u32_e32 v50, v1, v28
	v_mov_b32_e32 v51, v9
	v_mul_hi_u32 v1, v52, s24
	v_lshl_add_u64 v[28:29], v[50:51], 4, s[12:13]
	v_lshrrev_b32_e32 v51, 3, v1
	global_load_dwordx4 v[24:27], v[24:25], off
	v_mul_lo_u32 v1, v51, 10
	global_load_dwordx4 v[28:31], v[28:29], off
	v_sub_u32_e32 v52, v52, v1
	v_mov_b32_e32 v53, v9
	v_lshl_add_u64 v[32:33], v[52:53], 4, s[12:13]
	global_load_dwordx4 v[32:35], v[32:33], off
	ds_read2_b64 v[36:39], v38 offset0:88 offset1:208
	s_mov_b32 s24, 0x2222223
	s_movk_i32 s26, 0x60
	v_cmp_gt_u64_e32 vcc, s[14:15], v[46:47]
	s_or_b64 s[0:1], s[0:1], vcc
	s_waitcnt vmcnt(4) lgkmcnt(0)
	v_mul_f64 v[54:55], v[36:37], v[18:19]
	v_fmac_f64_e32 v[54:55], v[2:3], v[16:17]
	v_mul_f64 v[2:3], v[2:3], v[18:19]
	v_fma_f64 v[2:3], v[36:37], v[16:17], -v[2:3]
	ds_read2_b64 v[16:19], v74 offset0:72 offset1:192
	s_waitcnt vmcnt(3)
	v_mul_f64 v[36:37], v[38:39], v[22:23]
	v_fmac_f64_e32 v[36:37], v[4:5], v[20:21]
	v_mul_f64 v[4:5], v[4:5], v[22:23]
	v_fma_f64 v[22:23], v[38:39], v[20:21], -v[4:5]
	ds_read_b64 v[20:21], v56 offset:8640
	s_waitcnt vmcnt(2) lgkmcnt(1)
	v_mul_f64 v[4:5], v[16:17], v[26:27]
	v_fmac_f64_e32 v[4:5], v[12:13], v[24:25]
	v_mul_f64 v[12:13], v[12:13], v[26:27]
	v_fma_f64 v[16:17], v[16:17], v[24:25], -v[12:13]
	s_waitcnt vmcnt(1)
	v_mul_f64 v[12:13], v[18:19], v[30:31]
	v_fmac_f64_e32 v[12:13], v[14:15], v[28:29]
	v_mul_f64 v[14:15], v[14:15], v[30:31]
	s_waitcnt vmcnt(0)
	v_mul_f64 v[30:31], v[72:73], v[34:35]
	v_fma_f64 v[14:15], v[18:19], v[28:29], -v[14:15]
	s_waitcnt lgkmcnt(0)
	v_mul_f64 v[28:29], v[20:21], v[34:35]
	v_fma_f64 v[30:31], v[20:21], v[32:33], -v[30:31]
	v_mul_hi_u32 v20, v0, s24
	v_mad_u32_u24 v11, v20, 20, v11
	v_add_f64 v[0:1], v[6:7], -v[54:55]
	v_mul_i32_i24_e32 v11, 0x60, v11
	ds_read_b64 v[24:25], v58
	ds_read_b64 v[26:27], v57
	;; [unrolled: 1-line block ×3, first 2 shown]
	v_fma_f64 v[6:7], v[6:7], 2.0, -v[0:1]
	v_add3_u32 v70, 0, v11, v90
	v_fmac_f64_e32 v[28:29], v[72:73], v[32:33]
	ds_read_b64 v[32:33], v75
	ds_read_b64 v[34:35], v59
	s_waitcnt lgkmcnt(0)
	s_barrier
	ds_write2_b64 v70, v[6:7], v[0:1] offset1:120
	v_mad_u64_u32 v[0:1], s[24:25], v60, 20, v[8:9]
	v_mul_lo_u32 v8, v0, s26
	v_add_f64 v[0:1], v[68:69], -v[36:37]
	v_fma_f64 v[6:7], v[68:69], 2.0, -v[0:1]
	v_add3_u32 v8, 0, v8, v90
	v_mad_u64_u32 v[20:21], s[24:25], v61, 20, v[40:41]
	ds_write2_b64 v8, v[6:7], v[0:1] offset1:120
	v_add_f64 v[0:1], v[66:67], -v[4:5]
	v_mul_lo_u32 v11, v20, s26
	v_add_f64 v[36:37], v[18:19], -v[2:3]
	v_fma_f64 v[2:3], v[66:67], 2.0, -v[0:1]
	v_add3_u32 v40, 0, v11, v90
	ds_write2_b64 v40, v[2:3], v[0:1] offset1:120
	v_mad_u64_u32 v[0:1], s[24:25], v41, 20, v[50:51]
	v_mul_lo_u32 v0, v0, s26
	v_add3_u32 v41, 0, v0, v90
	v_mad_u64_u32 v[0:1], s[24:25], v51, 20, v[52:53]
	v_add_f64 v[4:5], v[48:49], -v[12:13]
	v_add_f64 v[12:13], v[64:65], -v[28:29]
	v_mul_lo_u32 v0, v0, s26
	v_fma_f64 v[38:39], v[18:19], 2.0, -v[36:37]
	v_fma_f64 v[6:7], v[48:49], 2.0, -v[4:5]
	;; [unrolled: 1-line block ×3, first 2 shown]
	v_add3_u32 v60, 0, v0, v90
	ds_write2_b64 v41, v[6:7], v[4:5] offset1:120
	ds_write2_b64 v60, v[18:19], v[12:13] offset1:120
	v_add_u32_e32 v11, 0x1400, v56
	v_add_u32_e32 v12, 0x1c00, v56
	s_waitcnt lgkmcnt(0)
	s_barrier
	ds_read_b64 v[48:49], v56
	ds_read2_b64 v[0:3], v11 offset0:80 offset1:200
	ds_read2_b64 v[4:7], v12 offset0:64 offset1:184
	ds_read_b64 v[50:51], v59
	ds_read_b64 v[52:53], v58
	;; [unrolled: 1-line block ×3, first 2 shown]
	v_add_u32_e32 v13, 0xb00, v56
	ds_read2_b64 v[18:21], v13 offset0:8 offset1:248
	v_add_f64 v[22:23], v[26:27], -v[22:23]
	v_fma_f64 v[26:27], v[26:27], 2.0, -v[22:23]
	v_add_f64 v[16:17], v[24:25], -v[16:17]
	v_add_f64 v[14:15], v[32:33], -v[14:15]
	;; [unrolled: 1-line block ×3, first 2 shown]
	s_waitcnt lgkmcnt(0)
	s_barrier
	ds_write2_b64 v70, v[38:39], v[36:37] offset1:120
	v_fma_f64 v[24:25], v[24:25], 2.0, -v[16:17]
	v_fma_f64 v[28:29], v[32:33], 2.0, -v[14:15]
	;; [unrolled: 1-line block ×3, first 2 shown]
	ds_write2_b64 v8, v[26:27], v[22:23] offset1:120
	ds_write2_b64 v40, v[24:25], v[16:17] offset1:120
	;; [unrolled: 1-line block ×4, first 2 shown]
	s_waitcnt lgkmcnt(0)
	s_barrier
	s_and_saveexec_b64 s[14:15], s[0:1]
	s_cbranch_execz .LBB0_16
; %bb.15:
	v_lshrrev_b32_e32 v47, 4, v10
	v_mul_lo_u32 v8, v47, 20
	v_sub_u32_e32 v60, v44, v8
	v_lshlrev_b32_e32 v8, 2, v60
	v_lshl_add_u64 v[8:9], v[8:9], 4, s[12:13]
	global_load_dwordx4 v[30:33], v[8:9], off offset:160
	global_load_dwordx4 v[22:25], v[8:9], off offset:176
	;; [unrolled: 1-line block ×4, first 2 shown]
	v_add_u32_e32 v8, 0x50, v60
	s_movk_i32 s1, 0xffec
	v_mul_lo_u32 v8, v8, v46
	v_mul_lo_u32 v116, v46, s1
	v_lshrrev_b32_e32 v9, 8, v8
	s_add_i32 s0, 0, 0x2580
	v_and_b32_e32 v61, 63, v8
	v_lshrrev_b32_e32 v64, 2, v8
	v_add_u32_e32 v114, v8, v116
	v_and_b32_e32 v8, 0x3f0, v9
	v_lshl_add_u32 v9, v61, 4, 0
	v_and_b32_e32 v61, 0x3f0, v64
	v_lshrrev_b32_e32 v64, 8, v114
	v_and_b32_e32 v65, 63, v114
	v_add_u32_e32 v8, s0, v8
	ds_read2_b64 v[38:41], v13 offset0:8 offset1:248
	ds_read2_b64 v[14:17], v12 offset0:64 offset1:184
	;; [unrolled: 1-line block ×3, first 2 shown]
	ds_read_b64 v[80:81], v59
	ds_read_b64 v[82:83], v58
	;; [unrolled: 1-line block ×4, first 2 shown]
	v_add_u32_e32 v61, s0, v61
	v_and_b32_e32 v77, 0x3f0, v64
	v_lshl_add_u32 v106, v65, 4, 0
	ds_read_b128 v[64:67], v8 offset:2048
	ds_read_b128 v[68:71], v9 offset:9600
	;; [unrolled: 1-line block ×3, first 2 shown]
	v_lshrrev_b32_e32 v76, 2, v114
	v_and_b32_e32 v8, 0x3f0, v76
	v_add_u32_e32 v9, s0, v77
	v_add_u32_e32 v61, s0, v8
	ds_read_b128 v[76:79], v9 offset:2048
	s_waitcnt lgkmcnt(1)
	v_mul_f64 v[8:9], v[70:71], v[74:75]
	v_mul_f64 v[74:75], v[68:69], v[74:75]
	v_fma_f64 v[8:9], v[68:69], v[72:73], -v[8:9]
	v_fmac_f64_e32 v[74:75], v[70:71], v[72:73]
	v_mul_f64 v[68:69], v[74:75], v[66:67]
	v_mul_f64 v[66:67], v[8:9], v[66:67]
	v_fma_f64 v[68:69], v[64:65], v[8:9], -v[68:69]
	v_fmac_f64_e32 v[66:67], v[64:65], v[74:75]
	s_lshl_b64 s[2:3], s[2:3], 4
	s_add_u32 s2, s10, s2
	s_addc_u32 s3, s11, s3
	s_movk_i32 s1, 0x50
	s_waitcnt vmcnt(3)
	v_mul_f64 v[8:9], v[18:19], v[32:33]
	s_waitcnt vmcnt(2)
	v_mul_f64 v[64:65], v[20:21], v[24:25]
	v_mul_f64 v[88:89], v[40:41], v[24:25]
	s_waitcnt vmcnt(0)
	v_mul_f64 v[72:73], v[2:3], v[28:29]
	v_mul_f64 v[90:91], v[12:13], v[28:29]
	v_mul_f64 v[70:71], v[6:7], v[36:37]
	v_mul_f64 v[84:85], v[38:39], v[32:33]
	v_mul_f64 v[86:87], v[16:17], v[36:37]
	v_fma_f64 v[40:41], v[40:41], v[22:23], -v[64:65]
	v_fma_f64 v[12:13], v[12:13], v[26:27], -v[72:73]
	v_fmac_f64_e32 v[88:89], v[20:21], v[22:23]
	v_fmac_f64_e32 v[90:91], v[2:3], v[26:27]
	v_fma_f64 v[92:93], v[38:39], v[30:31], -v[8:9]
	v_fma_f64 v[94:95], v[16:17], v[34:35], -v[70:71]
	v_fmac_f64_e32 v[84:85], v[18:19], v[30:31]
	v_fmac_f64_e32 v[86:87], v[6:7], v[34:35]
	v_add_f64 v[8:9], v[40:41], v[12:13]
	v_add_f64 v[20:21], v[88:89], v[90:91]
	v_add_f64 v[36:37], v[84:85], -v[86:87]
	v_add_f64 v[16:17], v[84:85], -v[88:89]
	;; [unrolled: 1-line block ×4, first 2 shown]
	v_fma_f64 v[100:101], -0.5, v[8:9], v[58:59]
	v_fma_f64 v[104:105], -0.5, v[20:21], v[54:55]
	v_add_f64 v[2:3], v[92:93], -v[40:41]
	v_add_f64 v[6:7], v[94:95], -v[12:13]
	;; [unrolled: 1-line block ×4, first 2 shown]
	v_add_f64 v[102:103], v[16:17], v[18:19]
	v_fma_f64 v[8:9], s[18:19], v[36:37], v[100:101]
	v_fma_f64 v[16:17], s[20:21], v[98:99], v[104:105]
	v_add_f64 v[2:3], v[2:3], v[6:7]
	v_fmac_f64_e32 v[8:9], s[16:17], v[38:39]
	v_fmac_f64_e32 v[16:17], s[22:23], v[96:97]
	;; [unrolled: 1-line block ×4, first 2 shown]
	v_add_f64 v[22:23], v[40:41], -v[92:93]
	v_add_f64 v[24:25], v[12:13], -v[94:95]
	v_mul_f64 v[18:19], v[16:17], v[66:67]
	v_mul_f64 v[6:7], v[8:9], v[66:67]
	v_add_f64 v[32:33], v[22:23], v[24:25]
	v_fma_f64 v[8:9], v[8:9], v[68:69], -v[18:19]
	v_fmac_f64_e32 v[6:7], v[16:17], v[68:69]
	ds_read_b128 v[16:19], v106 offset:9600
	ds_read_b128 v[20:23], v61 offset:1024
	v_add_f64 v[26:27], v[92:93], v[94:95]
	v_fma_f64 v[34:35], -0.5, v[26:27], v[58:59]
	v_fma_f64 v[72:73], s[20:21], v[38:39], v[34:35]
	v_fmac_f64_e32 v[72:73], s[16:17], v[36:37]
	s_waitcnt lgkmcnt(0)
	v_mul_f64 v[24:25], v[18:19], v[22:23]
	v_fma_f64 v[24:25], v[16:17], v[20:21], -v[24:25]
	v_mul_f64 v[16:17], v[16:17], v[22:23]
	v_fmac_f64_e32 v[16:17], v[18:19], v[20:21]
	v_mul_f64 v[18:19], v[16:17], v[78:79]
	v_fma_f64 v[106:107], v[76:77], v[24:25], -v[18:19]
	v_mul_f64 v[74:75], v[24:25], v[78:79]
	v_add_u32_e32 v24, v114, v116
	v_fmac_f64_e32 v[74:75], v[76:77], v[16:17]
	v_lshrrev_b32_e32 v16, 8, v24
	v_lshrrev_b32_e32 v25, 2, v24
	v_add_f64 v[18:19], v[88:89], -v[84:85]
	v_add_f64 v[20:21], v[90:91], -v[86:87]
	v_and_b32_e32 v16, 0x3f0, v16
	v_and_b32_e32 v17, 63, v24
	;; [unrolled: 1-line block ×3, first 2 shown]
	v_add_f64 v[108:109], v[18:19], v[20:21]
	v_add_f64 v[18:19], v[84:85], v[86:87]
	v_add_u32_e32 v16, s0, v16
	v_lshl_add_u32 v17, v17, 4, 0
	v_add_u32_e32 v25, s0, v25
	v_fma_f64 v[110:111], -0.5, v[18:19], v[54:55]
	ds_read_b128 v[20:23], v16 offset:2048
	ds_read_b128 v[16:19], v17 offset:9600
	v_add_u32_e32 v61, v24, v116
	ds_read_b128 v[24:27], v25 offset:1024
	v_lshrrev_b32_e32 v28, 8, v61
	v_fma_f64 v[112:113], s[18:19], v[96:97], v[110:111]
	v_and_b32_e32 v28, 0x3f0, v28
	v_fmac_f64_e32 v[112:113], s[22:23], v[98:99]
	v_add_u32_e32 v28, s0, v28
	ds_read_b128 v[28:31], v28 offset:2048
	s_waitcnt lgkmcnt(1)
	v_mul_f64 v[64:65], v[18:19], v[26:27]
	v_mul_f64 v[26:27], v[16:17], v[26:27]
	v_fmac_f64_e32 v[112:113], s[6:7], v[108:109]
	v_fmac_f64_e32 v[72:73], s[6:7], v[32:33]
	v_fma_f64 v[114:115], v[16:17], v[24:25], -v[64:65]
	v_fmac_f64_e32 v[26:27], v[18:19], v[24:25]
	v_lshlrev_b32_e32 v24, 6, v45
	v_mul_f64 v[16:17], v[112:113], v[74:75]
	global_load_dwordx4 v[64:67], v24, s[12:13] offset:176
	global_load_dwordx4 v[68:71], v24, s[12:13] offset:160
	v_fma_f64 v[18:19], v[72:73], v[106:107], -v[16:17]
	v_mul_f64 v[16:17], v[72:73], v[74:75]
	global_load_dwordx4 v[72:75], v24, s[12:13] offset:208
	global_load_dwordx4 v[76:79], v24, s[12:13] offset:192
	v_mul_f64 v[24:25], v[26:27], v[22:23]
	v_fmac_f64_e32 v[110:111], s[20:21], v[96:97]
	v_fmac_f64_e32 v[16:17], v[112:113], v[106:107]
	;; [unrolled: 1-line block ×3, first 2 shown]
	v_fma_f64 v[106:107], v[20:21], v[114:115], -v[24:25]
	v_fmac_f64_e32 v[110:111], s[16:17], v[98:99]
	v_mul_f64 v[24:25], v[114:115], v[22:23]
	v_fmac_f64_e32 v[34:35], s[22:23], v[36:37]
	v_fmac_f64_e32 v[110:111], s[6:7], v[108:109]
	;; [unrolled: 1-line block ×4, first 2 shown]
	v_mul_f64 v[20:21], v[110:111], v[24:25]
	v_fma_f64 v[22:23], v[34:35], v[106:107], -v[20:21]
	v_mul_f64 v[20:21], v[34:35], v[24:25]
	v_lshrrev_b32_e32 v25, 2, v61
	v_and_b32_e32 v24, 63, v61
	v_and_b32_e32 v25, 0x3f0, v25
	v_lshl_add_u32 v24, v24, 4, 0
	v_add_u32_e32 v32, s0, v25
	ds_read_b128 v[24:27], v24 offset:9600
	ds_read_b128 v[32:35], v32 offset:1024
	v_fmac_f64_e32 v[100:101], s[20:21], v[36:37]
	v_fmac_f64_e32 v[100:101], s[22:23], v[38:39]
	v_fmac_f64_e32 v[100:101], s[6:7], v[2:3]
	v_fmac_f64_e32 v[104:105], s[18:19], v[98:99]
	s_waitcnt lgkmcnt(0)
	v_mul_f64 v[2:3], v[26:27], v[34:35]
	v_fma_f64 v[2:3], v[24:25], v[32:33], -v[2:3]
	v_mul_f64 v[24:25], v[24:25], v[34:35]
	v_fmac_f64_e32 v[24:25], v[26:27], v[32:33]
	v_mul_f64 v[26:27], v[24:25], v[30:31]
	v_fma_f64 v[32:33], v[28:29], v[2:3], -v[26:27]
	v_fmac_f64_e32 v[104:105], s[16:17], v[96:97]
	v_mul_f64 v[2:3], v[2:3], v[30:31]
	v_fmac_f64_e32 v[104:105], s[6:7], v[102:103]
	v_fmac_f64_e32 v[2:3], v[28:29], v[24:25]
	v_mul_f64 v[24:25], v[104:105], v[2:3]
	v_fma_f64 v[26:27], v[100:101], v[32:33], -v[24:25]
	v_mul_f64 v[24:25], v[100:101], v[2:3]
	v_mul_lo_u32 v2, v60, v46
	v_lshrrev_b32_e32 v3, 8, v2
	v_and_b32_e32 v28, 63, v2
	v_lshrrev_b32_e32 v2, 2, v2
	v_and_b32_e32 v3, 0x3f0, v3
	v_and_b32_e32 v2, 0x3f0, v2
	v_fmac_f64_e32 v[24:25], v[104:105], v[32:33]
	v_add_u32_e32 v3, s0, v3
	v_lshl_add_u32 v32, v28, 4, 0
	v_add_u32_e32 v2, s0, v2
	ds_read_b128 v[28:31], v3 offset:2048
	ds_read_b128 v[32:35], v32 offset:9600
	;; [unrolled: 1-line block ×3, first 2 shown]
	v_add_f64 v[2:3], v[58:59], v[92:93]
	v_add_f64 v[2:3], v[2:3], v[40:41]
	;; [unrolled: 1-line block ×4, first 2 shown]
	s_waitcnt lgkmcnt(0)
	v_mul_f64 v[12:13], v[34:35], v[38:39]
	v_fma_f64 v[12:13], v[32:33], v[36:37], -v[12:13]
	v_mul_f64 v[32:33], v[32:33], v[38:39]
	v_fmac_f64_e32 v[32:33], v[34:35], v[36:37]
	v_add_f64 v[36:37], v[54:55], v[84:85]
	v_mul_f64 v[34:35], v[32:33], v[30:31]
	v_add_f64 v[36:37], v[36:37], v[88:89]
	v_fma_f64 v[34:35], v[28:29], v[12:13], -v[34:35]
	v_add_f64 v[36:37], v[36:37], v[90:91]
	v_mul_f64 v[12:13], v[12:13], v[30:31]
	v_add_f64 v[36:37], v[36:37], v[86:87]
	v_fmac_f64_e32 v[12:13], v[28:29], v[32:33]
	v_mul_f64 v[28:29], v[36:37], v[12:13]
	v_fma_f64 v[30:31], v[2:3], v[34:35], -v[28:29]
	v_mul_f64 v[28:29], v[2:3], v[12:13]
	v_fmac_f64_e32 v[28:29], v[36:37], v[34:35]
	v_or_b32_e32 v98, 0x50, v45
	v_fmac_f64_e32 v[20:21], v[110:111], v[106:107]
	s_waitcnt vmcnt(2)
	v_mul_f64 v[2:3], v[52:53], v[70:71]
	v_fma_f64 v[34:35], v[82:83], v[68:69], -v[2:3]
	v_mul_f64 v[2:3], v[50:51], v[66:67]
	s_waitcnt vmcnt(1)
	v_mul_f64 v[12:13], v[4:5], v[74:75]
	v_fma_f64 v[38:39], v[14:15], v[72:73], -v[12:13]
	v_mul_f64 v[14:15], v[14:15], v[74:75]
	v_fmac_f64_e32 v[14:15], v[4:5], v[72:73]
	v_mul_f64 v[4:5], v[80:81], v[66:67]
	v_fma_f64 v[36:37], v[80:81], v[64:65], -v[2:3]
	s_waitcnt vmcnt(0)
	v_mul_f64 v[12:13], v[0:1], v[78:79]
	v_fmac_f64_e32 v[4:5], v[50:51], v[64:65]
	v_mul_f64 v[40:41], v[10:11], v[78:79]
	v_mul_lo_u32 v64, v98, v46
	v_fma_f64 v[54:55], v[10:11], v[76:77], -v[12:13]
	v_fmac_f64_e32 v[40:41], v[0:1], v[76:77]
	v_lshrrev_b32_e32 v0, 8, v64
	v_lshrrev_b32_e32 v65, 2, v64
	v_add_f64 v[2:3], v[34:35], -v[36:37]
	v_add_f64 v[12:13], v[38:39], -v[54:55]
	v_and_b32_e32 v0, 0x3f0, v0
	v_and_b32_e32 v1, 63, v64
	;; [unrolled: 1-line block ×3, first 2 shown]
	v_add_f64 v[60:61], v[2:3], v[12:13]
	v_add_f64 v[2:3], v[36:37], v[54:55]
	v_add_u32_e32 v0, s0, v0
	v_lshl_add_u32 v10, v1, 4, 0
	v_add_u32_e32 v65, s0, v65
	v_fma_f64 v[58:59], -0.5, v[2:3], v[56:57]
	ds_read_b128 v[0:3], v0 offset:2048
	ds_read_b128 v[10:13], v10 offset:9600
	v_add_u32_e32 v78, v64, v116
	ds_read_b128 v[64:67], v65 offset:1024
	v_mul_f64 v[32:33], v[82:83], v[70:71]
	v_fmac_f64_e32 v[32:33], v[52:53], v[68:69]
	v_lshrrev_b32_e32 v68, 8, v78
	v_and_b32_e32 v68, 0x3f0, v68
	v_add_u32_e32 v68, s0, v68
	ds_read_b128 v[68:71], v68 offset:2048
	s_waitcnt lgkmcnt(1)
	v_mul_f64 v[74:75], v[12:13], v[66:67]
	v_fma_f64 v[74:75], v[10:11], v[64:65], -v[74:75]
	v_mul_f64 v[10:11], v[10:11], v[66:67]
	v_fmac_f64_e32 v[10:11], v[12:13], v[64:65]
	v_add_f64 v[64:65], v[32:33], -v[4:5]
	v_add_f64 v[66:67], v[14:15], -v[40:41]
	v_add_f64 v[80:81], v[64:65], v[66:67]
	v_add_f64 v[64:65], v[4:5], v[40:41]
	v_fma_f64 v[84:85], -0.5, v[64:65], v[48:49]
	v_add_f64 v[86:87], v[34:35], -v[38:39]
	v_add_f64 v[52:53], v[32:33], -v[14:15]
	;; [unrolled: 1-line block ×3, first 2 shown]
	v_fma_f64 v[64:65], s[20:21], v[86:87], v[84:85]
	v_fma_f64 v[72:73], s[18:19], v[52:53], v[58:59]
	v_add_f64 v[50:51], v[4:5], -v[40:41]
	v_fmac_f64_e32 v[64:65], s[22:23], v[82:83]
	v_mul_f64 v[66:67], v[74:75], v[2:3]
	v_fmac_f64_e32 v[72:73], s[16:17], v[50:51]
	v_mul_f64 v[12:13], v[10:11], v[2:3]
	v_fmac_f64_e32 v[64:65], s[6:7], v[80:81]
	v_fmac_f64_e32 v[66:67], v[0:1], v[10:11]
	;; [unrolled: 1-line block ×3, first 2 shown]
	v_fma_f64 v[12:13], v[0:1], v[74:75], -v[12:13]
	v_mul_f64 v[0:1], v[64:65], v[66:67]
	v_fma_f64 v[2:3], v[72:73], v[12:13], -v[0:1]
	v_mul_f64 v[0:1], v[72:73], v[66:67]
	v_fmac_f64_e32 v[0:1], v[64:65], v[12:13]
	v_add_f64 v[10:11], v[36:37], -v[34:35]
	v_add_f64 v[12:13], v[54:55], -v[38:39]
	v_add_f64 v[72:73], v[10:11], v[12:13]
	v_lshrrev_b32_e32 v11, 2, v78
	v_and_b32_e32 v10, 63, v78
	v_and_b32_e32 v11, 0x3f0, v11
	v_lshl_add_u32 v10, v10, 4, 0
	v_add_u32_e32 v64, s0, v11
	ds_read_b128 v[10:13], v10 offset:9600
	ds_read_b128 v[64:67], v64 offset:1024
	v_add_f64 v[74:75], v[34:35], v[38:39]
	v_fma_f64 v[88:89], -0.5, v[74:75], v[56:57]
	v_fma_f64 v[74:75], s[20:21], v[50:51], v[88:89]
	v_fmac_f64_e32 v[74:75], s[16:17], v[52:53]
	s_waitcnt lgkmcnt(0)
	v_mul_f64 v[76:77], v[12:13], v[66:67]
	v_fma_f64 v[76:77], v[10:11], v[64:65], -v[76:77]
	v_mul_f64 v[10:11], v[10:11], v[66:67]
	v_fmac_f64_e32 v[10:11], v[12:13], v[64:65]
	v_mul_f64 v[12:13], v[10:11], v[70:71]
	v_fma_f64 v[64:65], v[68:69], v[76:77], -v[12:13]
	v_add_f64 v[12:13], v[4:5], -v[32:33]
	v_add_f64 v[66:67], v[40:41], -v[14:15]
	v_add_f64 v[90:91], v[12:13], v[66:67]
	v_add_f64 v[12:13], v[32:33], v[14:15]
	v_fma_f64 v[92:93], -0.5, v[12:13], v[48:49]
	v_fma_f64 v[66:67], s[18:19], v[82:83], v[92:93]
	v_fmac_f64_e32 v[66:67], s[22:23], v[86:87]
	v_mul_f64 v[70:71], v[76:77], v[70:71]
	v_fmac_f64_e32 v[66:67], s[6:7], v[90:91]
	v_fmac_f64_e32 v[70:71], v[68:69], v[10:11]
	;; [unrolled: 1-line block ×4, first 2 shown]
	v_mul_f64 v[10:11], v[66:67], v[70:71]
	v_fmac_f64_e32 v[88:89], s[22:23], v[52:53]
	v_fma_f64 v[12:13], v[74:75], v[64:65], -v[10:11]
	v_mul_f64 v[10:11], v[74:75], v[70:71]
	v_fmac_f64_e32 v[88:89], s[6:7], v[72:73]
	v_add_u32_e32 v72, v78, v116
	v_fmac_f64_e32 v[10:11], v[66:67], v[64:65]
	v_lshrrev_b32_e32 v64, 8, v72
	v_lshrrev_b32_e32 v73, 2, v72
	v_and_b32_e32 v64, 0x3f0, v64
	v_and_b32_e32 v65, 63, v72
	;; [unrolled: 1-line block ×3, first 2 shown]
	v_add_u32_e32 v64, s0, v64
	v_lshl_add_u32 v68, v65, 4, 0
	v_add_u32_e32 v73, s0, v73
	ds_read_b128 v[64:67], v64 offset:2048
	ds_read_b128 v[68:71], v68 offset:9600
	v_add_u32_e32 v99, v72, v116
	ds_read_b128 v[72:75], v73 offset:1024
	v_lshrrev_b32_e32 v76, 8, v99
	v_and_b32_e32 v76, 0x3f0, v76
	v_add_u32_e32 v76, s0, v76
	ds_read_b128 v[76:79], v76 offset:2048
	s_waitcnt lgkmcnt(1)
	v_mul_f64 v[94:95], v[70:71], v[74:75]
	v_fma_f64 v[94:95], v[68:69], v[72:73], -v[94:95]
	v_mul_f64 v[68:69], v[68:69], v[74:75]
	v_fmac_f64_e32 v[68:69], v[70:71], v[72:73]
	v_mul_f64 v[70:71], v[68:69], v[66:67]
	v_fma_f64 v[96:97], v[64:65], v[94:95], -v[70:71]
	v_fmac_f64_e32 v[92:93], s[20:21], v[82:83]
	v_mul_f64 v[70:71], v[94:95], v[66:67]
	v_fmac_f64_e32 v[92:93], s[16:17], v[86:87]
	v_fmac_f64_e32 v[70:71], v[64:65], v[68:69]
	v_lshrrev_b32_e32 v69, 2, v99
	v_fmac_f64_e32 v[92:93], s[6:7], v[90:91]
	v_and_b32_e32 v68, 63, v99
	v_and_b32_e32 v69, 0x3f0, v69
	v_mul_f64 v[64:65], v[92:93], v[70:71]
	v_lshl_add_u32 v68, v68, 4, 0
	v_add_u32_e32 v72, s0, v69
	v_fma_f64 v[66:67], v[88:89], v[96:97], -v[64:65]
	v_mul_f64 v[64:65], v[88:89], v[70:71]
	ds_read_b128 v[68:71], v68 offset:9600
	ds_read_b128 v[72:75], v72 offset:1024
	v_fmac_f64_e32 v[58:59], s[20:21], v[52:53]
	v_fmac_f64_e32 v[58:59], s[22:23], v[50:51]
	;; [unrolled: 1-line block ×4, first 2 shown]
	s_waitcnt lgkmcnt(0)
	v_mul_f64 v[52:53], v[68:69], v[74:75]
	v_mul_f64 v[50:51], v[70:71], v[74:75]
	v_fmac_f64_e32 v[52:53], v[70:71], v[72:73]
	v_fma_f64 v[50:51], v[68:69], v[72:73], -v[50:51]
	v_mul_f64 v[60:61], v[52:53], v[78:79]
	v_fma_f64 v[60:61], v[76:77], v[50:51], -v[60:61]
	v_fmac_f64_e32 v[84:85], s[16:17], v[82:83]
	v_mul_f64 v[50:51], v[50:51], v[78:79]
	v_fmac_f64_e32 v[84:85], s[6:7], v[80:81]
	v_fmac_f64_e32 v[50:51], v[76:77], v[52:53]
	v_mul_f64 v[52:53], v[84:85], v[50:51]
	v_mul_lo_u32 v46, v45, v46
	v_fma_f64 v[52:53], v[58:59], v[60:61], -v[52:53]
	v_mul_f64 v[50:51], v[58:59], v[50:51]
	v_lshrrev_b32_e32 v58, 8, v46
	v_and_b32_e32 v59, 63, v46
	v_lshrrev_b32_e32 v46, 2, v46
	v_and_b32_e32 v58, 0x3f0, v58
	v_and_b32_e32 v46, 0x3f0, v46
	v_add_u32_e32 v58, s0, v58
	v_lshl_add_u32 v68, v59, 4, 0
	v_add_u32_e32 v46, s0, v46
	v_fmac_f64_e32 v[50:51], v[84:85], v[60:61]
	ds_read_b128 v[58:61], v58 offset:2048
	ds_read_b128 v[68:71], v68 offset:9600
	;; [unrolled: 1-line block ×3, first 2 shown]
	v_add_f64 v[34:35], v[56:57], v[34:35]
	v_add_f64 v[34:35], v[34:35], v[36:37]
	;; [unrolled: 1-line block ×5, first 2 shown]
	s_waitcnt lgkmcnt(0)
	v_mul_f64 v[34:35], v[70:71], v[74:75]
	v_add_f64 v[4:5], v[32:33], v[4:5]
	v_fma_f64 v[34:35], v[68:69], v[72:73], -v[34:35]
	v_mul_f64 v[38:39], v[68:69], v[74:75]
	v_add_f64 v[4:5], v[4:5], v[40:41]
	v_fmac_f64_e32 v[38:39], v[70:71], v[72:73]
	v_add_f64 v[4:5], v[4:5], v[14:15]
	v_mul_f64 v[14:15], v[34:35], v[60:61]
	v_mul_f64 v[54:55], v[38:39], v[60:61]
	v_fmac_f64_e32 v[14:15], v[58:59], v[38:39]
	v_fma_f64 v[54:55], v[58:59], v[34:35], -v[54:55]
	v_mul_f64 v[32:33], v[4:5], v[14:15]
	v_fma_f64 v[34:35], v[36:37], v[54:55], -v[32:33]
	v_mul_f64 v[32:33], v[36:37], v[14:15]
	v_fmac_f64_e32 v[32:33], v[4:5], v[54:55]
	v_mad_u64_u32 v[4:5], s[6:7], s4, v42, 0
	v_mov_b32_e32 v14, v5
	v_mad_u64_u32 v[14:15], s[4:5], s5, v42, v[14:15]
	v_mov_b32_e32 v5, v14
	v_mad_u64_u32 v[14:15], s[4:5], s8, v45, 0
	v_mov_b32_e32 v36, v15
	v_mad_u64_u32 v[36:37], s[4:5], s9, v45, v[36:37]
	v_mov_b32_e32 v15, v36
	v_lshl_add_u64 v[4:5], v[4:5], 4, s[2:3]
	v_lshl_add_u64 v[14:15], v[14:15], 4, v[4:5]
	global_store_dwordx4 v[14:15], v[32:35], off
	v_mad_u64_u32 v[14:15], s[2:3], s8, v63, 0
	s_nop 0
	v_mov_b32_e32 v32, v15
	v_mad_u64_u32 v[32:33], s[2:3], s9, v63, v[32:33]
	v_mov_b32_e32 v15, v32
	v_lshl_add_u64 v[14:15], v[14:15], 4, v[4:5]
	global_store_dwordx4 v[14:15], v[50:53], off
	v_mad_u64_u32 v[14:15], s[2:3], s8, v62, 0
	v_mov_b32_e32 v32, v15
	v_mad_u64_u32 v[32:33], s[2:3], s9, v62, v[32:33]
	v_mov_b32_e32 v15, v32
	v_fmac_f64_e32 v[64:65], v[92:93], v[96:97]
	v_lshl_add_u64 v[14:15], v[14:15], 4, v[4:5]
	global_store_dwordx4 v[14:15], v[64:67], off
	v_mad_u64_u32 v[14:15], s[2:3], s8, v43, 0
	v_mov_b32_e32 v32, v15
	v_mad_u64_u32 v[32:33], s[2:3], s9, v43, v[32:33]
	v_mov_b32_e32 v15, v32
	v_lshl_add_u64 v[14:15], v[14:15], 4, v[4:5]
	global_store_dwordx4 v[14:15], v[10:13], off
	s_nop 1
	v_mad_u64_u32 v[10:11], s[2:3], s8, v98, 0
	v_mov_b32_e32 v12, v11
	v_mad_u64_u32 v[12:13], s[2:3], s9, v98, v[12:13]
	v_mov_b32_e32 v11, v12
	v_lshl_add_u64 v[10:11], v[10:11], 4, v[4:5]
	global_store_dwordx4 v[10:11], v[0:3], off
	s_nop 1
	v_mad_u64_u32 v[0:1], s[0:1], v47, s1, v[44:45]
	v_mad_u64_u32 v[2:3], s[0:1], s8, v0, 0
	v_mov_b32_e32 v10, v3
	v_mad_u64_u32 v[10:11], s[0:1], s9, v0, v[10:11]
	v_mov_b32_e32 v3, v10
	v_lshl_add_u64 v[2:3], v[2:3], 4, v[4:5]
	v_add_u32_e32 v1, 20, v0
	global_store_dwordx4 v[2:3], v[28:31], off
	v_mad_u64_u32 v[2:3], s[0:1], s8, v1, 0
	v_mov_b32_e32 v10, v3
	v_mad_u64_u32 v[10:11], s[0:1], s9, v1, v[10:11]
	v_mov_b32_e32 v3, v10
	v_lshl_add_u64 v[2:3], v[2:3], 4, v[4:5]
	v_add_u32_e32 v1, 40, v0
	global_store_dwordx4 v[2:3], v[24:27], off
	;; [unrolled: 7-line block ×3, first 2 shown]
	v_mad_u64_u32 v[2:3], s[0:1], s8, v1, 0
	v_mov_b32_e32 v10, v3
	v_mad_u64_u32 v[10:11], s[0:1], s9, v1, v[10:11]
	v_mov_b32_e32 v3, v10
	v_lshl_add_u64 v[2:3], v[2:3], 4, v[4:5]
	global_store_dwordx4 v[2:3], v[16:19], off
	v_add_u32_e32 v3, 0x50, v0
	v_mad_u64_u32 v[0:1], s[0:1], s8, v3, 0
	v_mov_b32_e32 v2, v1
	v_mad_u64_u32 v[2:3], s[0:1], s9, v3, v[2:3]
	v_mov_b32_e32 v1, v2
	v_lshl_add_u64 v[0:1], v[0:1], 4, v[4:5]
	global_store_dwordx4 v[0:1], v[6:9], off
.LBB0_16:
	s_endpgm
	.section	.rodata,"a",@progbits
	.p2align	6, 0x0
	.amdhsa_kernel fft_rtc_back_len100_factors_10_2_5_wgs_120_tpt_10_halfLds_dim2_dp_ip_CI_sbcc_twdbase6_3step_dirReg
		.amdhsa_group_segment_fixed_size 0
		.amdhsa_private_segment_fixed_size 0
		.amdhsa_kernarg_size 88
		.amdhsa_user_sgpr_count 2
		.amdhsa_user_sgpr_dispatch_ptr 0
		.amdhsa_user_sgpr_queue_ptr 0
		.amdhsa_user_sgpr_kernarg_segment_ptr 1
		.amdhsa_user_sgpr_dispatch_id 0
		.amdhsa_user_sgpr_kernarg_preload_length 0
		.amdhsa_user_sgpr_kernarg_preload_offset 0
		.amdhsa_user_sgpr_private_segment_size 0
		.amdhsa_uses_dynamic_stack 0
		.amdhsa_enable_private_segment 0
		.amdhsa_system_sgpr_workgroup_id_x 1
		.amdhsa_system_sgpr_workgroup_id_y 0
		.amdhsa_system_sgpr_workgroup_id_z 0
		.amdhsa_system_sgpr_workgroup_info 0
		.amdhsa_system_vgpr_workitem_id 0
		.amdhsa_next_free_vgpr 117
		.amdhsa_next_free_sgpr 27
		.amdhsa_accum_offset 120
		.amdhsa_reserve_vcc 1
		.amdhsa_float_round_mode_32 0
		.amdhsa_float_round_mode_16_64 0
		.amdhsa_float_denorm_mode_32 3
		.amdhsa_float_denorm_mode_16_64 3
		.amdhsa_dx10_clamp 1
		.amdhsa_ieee_mode 1
		.amdhsa_fp16_overflow 0
		.amdhsa_tg_split 0
		.amdhsa_exception_fp_ieee_invalid_op 0
		.amdhsa_exception_fp_denorm_src 0
		.amdhsa_exception_fp_ieee_div_zero 0
		.amdhsa_exception_fp_ieee_overflow 0
		.amdhsa_exception_fp_ieee_underflow 0
		.amdhsa_exception_fp_ieee_inexact 0
		.amdhsa_exception_int_div_zero 0
	.end_amdhsa_kernel
	.text
.Lfunc_end0:
	.size	fft_rtc_back_len100_factors_10_2_5_wgs_120_tpt_10_halfLds_dim2_dp_ip_CI_sbcc_twdbase6_3step_dirReg, .Lfunc_end0-fft_rtc_back_len100_factors_10_2_5_wgs_120_tpt_10_halfLds_dim2_dp_ip_CI_sbcc_twdbase6_3step_dirReg
                                        ; -- End function
	.section	.AMDGPU.csdata,"",@progbits
; Kernel info:
; codeLenInByte = 7500
; NumSgprs: 33
; NumVgprs: 117
; NumAgprs: 0
; TotalNumVgprs: 117
; ScratchSize: 0
; MemoryBound: 1
; FloatMode: 240
; IeeeMode: 1
; LDSByteSize: 0 bytes/workgroup (compile time only)
; SGPRBlocks: 4
; VGPRBlocks: 14
; NumSGPRsForWavesPerEU: 33
; NumVGPRsForWavesPerEU: 117
; AccumOffset: 120
; Occupancy: 4
; WaveLimiterHint : 1
; COMPUTE_PGM_RSRC2:SCRATCH_EN: 0
; COMPUTE_PGM_RSRC2:USER_SGPR: 2
; COMPUTE_PGM_RSRC2:TRAP_HANDLER: 0
; COMPUTE_PGM_RSRC2:TGID_X_EN: 1
; COMPUTE_PGM_RSRC2:TGID_Y_EN: 0
; COMPUTE_PGM_RSRC2:TGID_Z_EN: 0
; COMPUTE_PGM_RSRC2:TIDIG_COMP_CNT: 0
; COMPUTE_PGM_RSRC3_GFX90A:ACCUM_OFFSET: 29
; COMPUTE_PGM_RSRC3_GFX90A:TG_SPLIT: 0
	.text
	.p2alignl 6, 3212836864
	.fill 256, 4, 3212836864
	.type	__hip_cuid_c038a5a68403cf3a,@object ; @__hip_cuid_c038a5a68403cf3a
	.section	.bss,"aw",@nobits
	.globl	__hip_cuid_c038a5a68403cf3a
__hip_cuid_c038a5a68403cf3a:
	.byte	0                               ; 0x0
	.size	__hip_cuid_c038a5a68403cf3a, 1

	.ident	"AMD clang version 19.0.0git (https://github.com/RadeonOpenCompute/llvm-project roc-6.4.0 25133 c7fe45cf4b819c5991fe208aaa96edf142730f1d)"
	.section	".note.GNU-stack","",@progbits
	.addrsig
	.addrsig_sym __hip_cuid_c038a5a68403cf3a
	.amdgpu_metadata
---
amdhsa.kernels:
  - .agpr_count:     0
    .args:
      - .actual_access:  read_only
        .address_space:  global
        .offset:         0
        .size:           8
        .value_kind:     global_buffer
      - .address_space:  global
        .offset:         8
        .size:           8
        .value_kind:     global_buffer
      - .actual_access:  read_only
        .address_space:  global
        .offset:         16
        .size:           8
        .value_kind:     global_buffer
      - .actual_access:  read_only
        .address_space:  global
        .offset:         24
        .size:           8
        .value_kind:     global_buffer
      - .offset:         32
        .size:           8
        .value_kind:     by_value
      - .actual_access:  read_only
        .address_space:  global
        .offset:         40
        .size:           8
        .value_kind:     global_buffer
      - .actual_access:  read_only
        .address_space:  global
        .offset:         48
        .size:           8
        .value_kind:     global_buffer
      - .offset:         56
        .size:           4
        .value_kind:     by_value
      - .actual_access:  read_only
        .address_space:  global
        .offset:         64
        .size:           8
        .value_kind:     global_buffer
      - .actual_access:  read_only
        .address_space:  global
        .offset:         72
        .size:           8
        .value_kind:     global_buffer
      - .address_space:  global
        .offset:         80
        .size:           8
        .value_kind:     global_buffer
    .group_segment_fixed_size: 0
    .kernarg_segment_align: 8
    .kernarg_segment_size: 88
    .language:       OpenCL C
    .language_version:
      - 2
      - 0
    .max_flat_workgroup_size: 120
    .name:           fft_rtc_back_len100_factors_10_2_5_wgs_120_tpt_10_halfLds_dim2_dp_ip_CI_sbcc_twdbase6_3step_dirReg
    .private_segment_fixed_size: 0
    .sgpr_count:     33
    .sgpr_spill_count: 0
    .symbol:         fft_rtc_back_len100_factors_10_2_5_wgs_120_tpt_10_halfLds_dim2_dp_ip_CI_sbcc_twdbase6_3step_dirReg.kd
    .uniform_work_group_size: 1
    .uses_dynamic_stack: false
    .vgpr_count:     117
    .vgpr_spill_count: 0
    .wavefront_size: 64
amdhsa.target:   amdgcn-amd-amdhsa--gfx950
amdhsa.version:
  - 1
  - 2
...

	.end_amdgpu_metadata
